;; amdgpu-corpus repo=ROCm/rocFFT kind=compiled arch=gfx1030 opt=O3
	.text
	.amdgcn_target "amdgcn-amd-amdhsa--gfx1030"
	.amdhsa_code_object_version 6
	.protected	fft_rtc_fwd_len336_factors_3_7_8_2_wgs_168_tpt_42_dim3_dp_ip_CI_sbcc_twdbase8_2step_dirReg ; -- Begin function fft_rtc_fwd_len336_factors_3_7_8_2_wgs_168_tpt_42_dim3_dp_ip_CI_sbcc_twdbase8_2step_dirReg
	.globl	fft_rtc_fwd_len336_factors_3_7_8_2_wgs_168_tpt_42_dim3_dp_ip_CI_sbcc_twdbase8_2step_dirReg
	.p2align	8
	.type	fft_rtc_fwd_len336_factors_3_7_8_2_wgs_168_tpt_42_dim3_dp_ip_CI_sbcc_twdbase8_2step_dirReg,@function
fft_rtc_fwd_len336_factors_3_7_8_2_wgs_168_tpt_42_dim3_dp_ip_CI_sbcc_twdbase8_2step_dirReg: ; @fft_rtc_fwd_len336_factors_3_7_8_2_wgs_168_tpt_42_dim3_dp_ip_CI_sbcc_twdbase8_2step_dirReg
; %bb.0:
	s_load_dwordx4 s[0:3], s[4:5], 0x10
	s_mov_b32 s7, 0
	s_mov_b64 s[18:19], 0
	s_waitcnt lgkmcnt(0)
	s_load_dwordx2 s[14:15], s[0:1], 0x8
	s_waitcnt lgkmcnt(0)
	s_add_u32 s8, s14, -1
	s_addc_u32 s9, s15, -1
	s_lshr_b64 s[8:9], s[8:9], 2
	s_add_u32 s16, s8, 1
	s_addc_u32 s17, s9, 0
	v_cmp_lt_u64_e64 s8, s[6:7], s[16:17]
	s_and_b32 vcc_lo, exec_lo, s8
	s_cbranch_vccnz .LBB0_2
; %bb.1:
	v_cvt_f32_u32_e32 v1, s16
	s_sub_i32 s9, 0, s16
	s_mov_b32 s19, s7
	v_rcp_iflag_f32_e32 v1, v1
	v_mul_f32_e32 v1, 0x4f7ffffe, v1
	v_cvt_u32_f32_e32 v1, v1
	v_readfirstlane_b32 s8, v1
	s_mul_i32 s9, s9, s8
	s_mul_hi_u32 s9, s8, s9
	s_add_i32 s8, s8, s9
	s_mul_hi_u32 s8, s6, s8
	s_mul_i32 s9, s8, s16
	s_add_i32 s10, s8, 1
	s_sub_i32 s9, s6, s9
	s_sub_i32 s11, s9, s16
	s_cmp_ge_u32 s9, s16
	s_cselect_b32 s8, s10, s8
	s_cselect_b32 s9, s11, s9
	s_add_i32 s10, s8, 1
	s_cmp_ge_u32 s9, s16
	s_cselect_b32 s18, s10, s8
.LBB0_2:
	s_load_dwordx2 s[22:23], s[0:1], 0x10
	s_load_dwordx2 s[10:11], s[2:3], 0x8
	s_waitcnt lgkmcnt(0)
	v_cmp_lt_u64_e64 s0, s[18:19], s[22:23]
	s_and_b32 vcc_lo, exec_lo, s0
	s_mov_b64 s[0:1], s[18:19]
	s_cbranch_vccnz .LBB0_4
; %bb.3:
	v_cvt_f32_u32_e32 v1, s22
	s_sub_i32 s1, 0, s22
	v_rcp_iflag_f32_e32 v1, v1
	v_mul_f32_e32 v1, 0x4f7ffffe, v1
	v_cvt_u32_f32_e32 v1, v1
	v_readfirstlane_b32 s0, v1
	s_mul_i32 s1, s1, s0
	s_mul_hi_u32 s1, s0, s1
	s_add_i32 s0, s0, s1
	s_mul_hi_u32 s0, s18, s0
	s_mul_i32 s0, s0, s22
	s_sub_i32 s0, s18, s0
	s_sub_i32 s1, s0, s22
	s_cmp_ge_u32 s0, s22
	s_cselect_b32 s0, s1, s0
	s_sub_i32 s1, s0, s22
	s_cmp_ge_u32 s0, s22
	s_cselect_b32 s0, s1, s0
.LBB0_4:
	s_load_dwordx2 s[12:13], s[4:5], 0x50
	s_clause 0x1
	s_load_dwordx2 s[8:9], s[2:3], 0x0
	s_load_dwordx2 s[20:21], s[2:3], 0x10
	s_mul_i32 s1, s22, s17
	s_mul_hi_u32 s19, s22, s16
	s_mul_i32 s24, s22, s16
	s_add_i32 s1, s19, s1
	s_mul_i32 s19, s23, s16
	s_mov_b64 s[22:23], 0
	s_add_i32 s25, s1, s19
	v_cmp_lt_u64_e64 s1, s[6:7], s[24:25]
	s_and_b32 vcc_lo, exec_lo, s1
	s_cbranch_vccnz .LBB0_6
; %bb.5:
	v_cvt_f32_u32_e32 v1, s24
	s_sub_i32 s7, 0, s24
	v_rcp_iflag_f32_e32 v1, v1
	v_mul_f32_e32 v1, 0x4f7ffffe, v1
	v_cvt_u32_f32_e32 v1, v1
	v_readfirstlane_b32 s1, v1
	s_mul_i32 s7, s7, s1
	s_mul_hi_u32 s7, s1, s7
	s_add_i32 s1, s1, s7
	s_mul_hi_u32 s1, s6, s1
	s_mul_i32 s7, s1, s24
	s_add_i32 s19, s1, 1
	s_sub_i32 s7, s6, s7
	s_sub_i32 s22, s7, s24
	s_cmp_ge_u32 s7, s24
	s_cselect_b32 s1, s19, s1
	s_cselect_b32 s7, s22, s7
	s_add_i32 s19, s1, 1
	s_cmp_ge_u32 s7, s24
	s_cselect_b32 s22, s19, s1
.LBB0_6:
	s_mul_i32 s1, s18, s17
	s_mul_hi_u32 s7, s18, s16
	s_load_dwordx2 s[2:3], s[2:3], 0x18
	s_mul_i32 s16, s18, s16
	s_add_i32 s7, s7, s1
	s_sub_u32 s6, s6, s16
	s_subb_u32 s7, 0, s7
	s_waitcnt lgkmcnt(0)
	s_mul_i32 s16, s21, s0
	v_alignbit_b32 v1, s7, s6, 30
	s_mul_hi_u32 s17, s20, s0
	s_mul_i32 s19, s20, s0
	s_lshl_b64 s[0:1], s[6:7], 2
	s_add_i32 s17, s17, s16
	v_readfirstlane_b32 s18, v1
	s_mul_hi_u32 s6, s10, s0
	s_mul_i32 s16, s11, s0
	v_and_b32_e32 v59, 3, v0
	v_mov_b32_e32 v58, s1
	s_mul_i32 s7, s10, s18
	v_lshrrev_b32_e32 v61, 2, v0
	s_add_i32 s6, s6, s7
	s_mul_i32 s7, s10, s0
	s_add_i32 s6, s6, s16
	s_mul_i32 s3, s3, s22
	s_mul_hi_u32 s16, s2, s22
	s_add_u32 s7, s19, s7
	s_mul_i32 s2, s2, s22
	s_addc_u32 s6, s17, s6
	s_add_i32 s16, s16, s3
	s_add_u32 s2, s2, s7
	s_addc_u32 s3, s16, s6
	s_add_u32 s6, s0, 4
	s_addc_u32 s7, s1, 0
	v_or_b32_e32 v57, s0, v59
	v_cmp_gt_u64_e64 s16, s[6:7], s[14:15]
	v_cmp_le_u64_e64 s33, s[6:7], s[14:15]
	s_and_b32 vcc_lo, exec_lo, s16
	s_cbranch_vccz .LBB0_14
; %bb.7:
	s_mov_b32 s0, exec_lo
                                        ; implicit-def: $vgpr60
	v_cmpx_le_u64_e64 s[14:15], v[57:58]
	s_xor_b32 s0, exec_lo, s0
; %bb.8:
	v_add_nc_u32_e32 v60, 42, v61
; %bb.9:
	s_or_saveexec_b32 s0, s0
                                        ; implicit-def: $vgpr5_vgpr6
                                        ; implicit-def: $vgpr1_vgpr2
                                        ; implicit-def: $vgpr9_vgpr10
                                        ; implicit-def: $vgpr25_vgpr26
                                        ; implicit-def: $vgpr29_vgpr30
                                        ; implicit-def: $vgpr33_vgpr34
                                        ; implicit-def: $vgpr17_vgpr18
                                        ; implicit-def: $vgpr13_vgpr14
                                        ; implicit-def: $vgpr21_vgpr22
	s_xor_b32 exec_lo, exec_lo, s0
	s_cbranch_execz .LBB0_13
; %bb.10:
	v_mad_u64_u32 v[1:2], null, s10, v59, 0
	v_mad_u64_u32 v[3:4], null, s8, v61, 0
	v_add_nc_u32_e32 v12, 0x70, v61
	v_add_nc_u32_e32 v14, 0xe0, v61
	;; [unrolled: 1-line block ×3, first 2 shown]
	s_lshl_b64 s[6:7], s[2:3], 4
	v_add_nc_u32_e32 v16, 0x9a, v61
	s_add_u32 s1, s12, s6
	v_mad_u64_u32 v[5:6], null, s11, v59, v[2:3]
	v_mad_u64_u32 v[6:7], null, s8, v12, 0
	;; [unrolled: 1-line block ×4, first 2 shown]
	v_mov_b32_e32 v2, v5
	v_mad_u64_u32 v[4:5], null, s9, v61, v[4:5]
	v_mov_b32_e32 v5, v7
	s_addc_u32 s6, s13, s7
	v_lshlrev_b64 v[1:2], 4, v[1:2]
	v_add_nc_u32_e32 v18, 0x10a, v61
                                        ; implicit-def: $vgpr29_vgpr30
                                        ; implicit-def: $vgpr33_vgpr34
	v_mad_u64_u32 v[12:13], null, s9, v12, v[5:6]
	v_mov_b32_e32 v5, v9
	v_add_co_u32 v27, vcc_lo, s1, v1
	v_add_co_ci_u32_e32 v28, vcc_lo, s6, v2, vcc_lo
	v_lshlrev_b64 v[1:2], 4, v[3:4]
	v_mad_u64_u32 v[3:4], null, s9, v14, v[5:6]
	v_mov_b32_e32 v7, v12
	v_mov_b32_e32 v4, v11
	v_mad_u64_u32 v[12:13], null, s8, v16, 0
	v_mad_u64_u32 v[14:15], null, s8, v18, 0
	;; [unrolled: 1-line block ×3, first 2 shown]
	v_lshlrev_b64 v[6:7], 4, v[6:7]
	v_mov_b32_e32 v9, v3
	v_mov_b32_e32 v5, v13
	v_add_co_u32 v1, vcc_lo, v27, v1
	v_add_co_ci_u32_e32 v2, vcc_lo, v28, v2, vcc_lo
	v_mov_b32_e32 v11, v4
	v_mad_u64_u32 v[3:4], null, s9, v16, v[5:6]
	v_add_co_u32 v16, vcc_lo, v27, v6
	v_lshlrev_b64 v[5:6], 4, v[8:9]
	v_mov_b32_e32 v4, v15
	v_add_co_ci_u32_e32 v17, vcc_lo, v28, v7, vcc_lo
	v_mov_b32_e32 v13, v3
	s_mov_b32 s1, exec_lo
	v_mad_u64_u32 v[7:8], null, s9, v18, v[4:5]
	v_lshlrev_b64 v[8:9], 4, v[10:11]
	v_add_co_u32 v3, vcc_lo, v27, v5
	v_add_co_ci_u32_e32 v4, vcc_lo, v28, v6, vcc_lo
	v_lshlrev_b64 v[5:6], 4, v[12:13]
	v_mov_b32_e32 v15, v7
	v_add_co_u32 v10, vcc_lo, v27, v8
	v_add_co_ci_u32_e32 v11, vcc_lo, v28, v9, vcc_lo
	v_lshlrev_b64 v[7:8], 4, v[14:15]
	v_add_co_u32 v18, vcc_lo, v27, v5
	v_add_co_ci_u32_e32 v19, vcc_lo, v28, v6, vcc_lo
	v_add_co_u32 v25, vcc_lo, v27, v7
	v_add_co_ci_u32_e32 v26, vcc_lo, v28, v8, vcc_lo
	s_clause 0x5
	global_load_dwordx4 v[5:8], v[1:2], off
	global_load_dwordx4 v[21:24], v[16:17], off
	global_load_dwordx4 v[1:4], v[3:4], off
	global_load_dwordx4 v[13:16], v[10:11], off
	global_load_dwordx4 v[17:20], v[18:19], off
	global_load_dwordx4 v[9:12], v[25:26], off
                                        ; implicit-def: $vgpr25_vgpr26
	v_cmpx_gt_u32_e32 0x70, v0
	s_cbranch_execz .LBB0_12
; %bb.11:
	v_add_nc_u32_e32 v33, 0x54, v61
	v_add_nc_u32_e32 v35, 0xc4, v61
	v_add_nc_u32_e32 v36, 0x134, v61
	v_mad_u64_u32 v[25:26], null, s8, v33, 0
	v_mad_u64_u32 v[29:30], null, s8, v35, 0
	;; [unrolled: 1-line block ×6, first 2 shown]
	v_mov_b32_e32 v26, v33
	v_mov_b32_e32 v30, v34
	v_lshlrev_b64 v[25:26], 4, v[25:26]
	v_mov_b32_e32 v32, v35
	v_lshlrev_b64 v[29:30], 4, v[29:30]
	v_add_co_u32 v25, vcc_lo, v27, v25
	v_lshlrev_b64 v[31:32], 4, v[31:32]
	v_add_co_ci_u32_e32 v26, vcc_lo, v28, v26, vcc_lo
	v_add_co_u32 v29, vcc_lo, v27, v29
	v_add_co_ci_u32_e32 v30, vcc_lo, v28, v30, vcc_lo
	v_add_co_u32 v31, vcc_lo, v27, v31
	v_add_co_ci_u32_e32 v32, vcc_lo, v28, v32, vcc_lo
	s_clause 0x2
	global_load_dwordx4 v[33:36], v[25:26], off
	global_load_dwordx4 v[25:28], v[29:30], off
	;; [unrolled: 1-line block ×3, first 2 shown]
.LBB0_12:
	s_or_b32 exec_lo, exec_lo, s1
.LBB0_13:
	s_or_b32 exec_lo, exec_lo, s0
	v_cmp_gt_u32_e64 s0, 0x70, v0
	s_cbranch_execz .LBB0_15
	s_branch .LBB0_18
.LBB0_14:
                                        ; implicit-def: $vgpr5_vgpr6
                                        ; implicit-def: $vgpr1_vgpr2
                                        ; implicit-def: $vgpr9_vgpr10
                                        ; implicit-def: $vgpr25_vgpr26
                                        ; implicit-def: $vgpr29_vgpr30
                                        ; implicit-def: $vgpr33_vgpr34
                                        ; implicit-def: $vgpr17_vgpr18
                                        ; implicit-def: $vgpr13_vgpr14
                                        ; implicit-def: $vgpr21_vgpr22
                                        ; implicit-def: $vgpr60
	v_cmp_gt_u32_e64 s0, 0x70, v0
.LBB0_15:
	s_waitcnt vmcnt(3)
	v_mad_u64_u32 v[1:2], null, s10, v59, 0
	v_mad_u64_u32 v[3:4], null, s8, v61, 0
	s_waitcnt vmcnt(0)
	v_add_nc_u32_e32 v12, 0x70, v61
	v_add_nc_u32_e32 v14, 0xe0, v61
	;; [unrolled: 1-line block ×3, first 2 shown]
	s_lshl_b64 s[6:7], s[2:3], 4
	v_add_nc_u32_e32 v16, 0x9a, v61
	s_add_u32 s1, s12, s6
	v_mad_u64_u32 v[5:6], null, s11, v59, v[2:3]
	v_mad_u64_u32 v[6:7], null, s8, v12, 0
	;; [unrolled: 1-line block ×4, first 2 shown]
	v_mov_b32_e32 v2, v5
	v_mad_u64_u32 v[4:5], null, s9, v61, v[4:5]
	v_mov_b32_e32 v5, v7
	s_addc_u32 s6, s13, s7
	v_lshlrev_b64 v[1:2], 4, v[1:2]
	v_add_nc_u32_e32 v18, 0x10a, v61
                                        ; implicit-def: $vgpr29_vgpr30
                                        ; implicit-def: $vgpr33_vgpr34
	v_mad_u64_u32 v[12:13], null, s9, v12, v[5:6]
	v_mov_b32_e32 v5, v9
	v_add_co_u32 v27, vcc_lo, s1, v1
	v_add_co_ci_u32_e32 v28, vcc_lo, s6, v2, vcc_lo
	v_lshlrev_b64 v[1:2], 4, v[3:4]
	v_mad_u64_u32 v[3:4], null, s9, v14, v[5:6]
	v_mov_b32_e32 v7, v12
	v_mov_b32_e32 v4, v11
	v_mad_u64_u32 v[12:13], null, s8, v16, 0
	v_mad_u64_u32 v[14:15], null, s8, v18, 0
	;; [unrolled: 1-line block ×3, first 2 shown]
	v_lshlrev_b64 v[6:7], 4, v[6:7]
	v_mov_b32_e32 v9, v3
	v_mov_b32_e32 v5, v13
	v_add_co_u32 v1, vcc_lo, v27, v1
	v_add_co_ci_u32_e32 v2, vcc_lo, v28, v2, vcc_lo
	v_mov_b32_e32 v11, v4
	v_mad_u64_u32 v[3:4], null, s9, v16, v[5:6]
	v_add_co_u32 v16, vcc_lo, v27, v6
	v_lshlrev_b64 v[5:6], 4, v[8:9]
	v_mov_b32_e32 v4, v15
	v_add_co_ci_u32_e32 v17, vcc_lo, v28, v7, vcc_lo
	v_mov_b32_e32 v13, v3
	v_mad_u64_u32 v[7:8], null, s9, v18, v[4:5]
	v_lshlrev_b64 v[8:9], 4, v[10:11]
	v_add_co_u32 v3, vcc_lo, v27, v5
	v_add_co_ci_u32_e32 v4, vcc_lo, v28, v6, vcc_lo
	v_lshlrev_b64 v[5:6], 4, v[12:13]
	v_mov_b32_e32 v15, v7
	v_add_co_u32 v10, vcc_lo, v27, v8
	v_add_co_ci_u32_e32 v11, vcc_lo, v28, v9, vcc_lo
	v_lshlrev_b64 v[7:8], 4, v[14:15]
	v_add_co_u32 v18, vcc_lo, v27, v5
	v_add_co_ci_u32_e32 v19, vcc_lo, v28, v6, vcc_lo
	v_add_co_u32 v25, vcc_lo, v27, v7
	v_add_co_ci_u32_e32 v26, vcc_lo, v28, v8, vcc_lo
	s_clause 0x5
	global_load_dwordx4 v[5:8], v[1:2], off
	global_load_dwordx4 v[21:24], v[16:17], off
	;; [unrolled: 1-line block ×6, first 2 shown]
                                        ; implicit-def: $vgpr25_vgpr26
	s_and_saveexec_b32 s1, s0
	s_cbranch_execz .LBB0_17
; %bb.16:
	v_add_nc_u32_e32 v33, 0x54, v61
	v_add_nc_u32_e32 v35, 0xc4, v61
	v_add_nc_u32_e32 v36, 0x134, v61
	v_mad_u64_u32 v[25:26], null, s8, v33, 0
	v_mad_u64_u32 v[29:30], null, s8, v35, 0
	;; [unrolled: 1-line block ×6, first 2 shown]
	v_mov_b32_e32 v26, v33
	v_mov_b32_e32 v30, v34
	v_lshlrev_b64 v[25:26], 4, v[25:26]
	v_mov_b32_e32 v32, v35
	v_lshlrev_b64 v[29:30], 4, v[29:30]
	v_add_co_u32 v25, vcc_lo, v27, v25
	v_lshlrev_b64 v[31:32], 4, v[31:32]
	v_add_co_ci_u32_e32 v26, vcc_lo, v28, v26, vcc_lo
	v_add_co_u32 v29, vcc_lo, v27, v29
	v_add_co_ci_u32_e32 v30, vcc_lo, v28, v30, vcc_lo
	v_add_co_u32 v31, vcc_lo, v27, v31
	v_add_co_ci_u32_e32 v32, vcc_lo, v28, v32, vcc_lo
	s_clause 0x2
	global_load_dwordx4 v[33:36], v[25:26], off
	global_load_dwordx4 v[25:28], v[29:30], off
	;; [unrolled: 1-line block ×3, first 2 shown]
.LBB0_17:
	s_or_b32 exec_lo, exec_lo, s1
.LBB0_18:
	s_waitcnt vmcnt(3)
	v_add_f64 v[37:38], v[21:22], v[1:2]
	v_add_f64 v[39:40], v[23:24], v[3:4]
	s_waitcnt vmcnt(0)
	v_add_f64 v[45:46], v[29:30], v[25:26]
	v_add_f64 v[47:48], v[31:32], v[27:28]
	;; [unrolled: 1-line block ×5, first 2 shown]
	v_add_f64 v[51:52], v[23:24], -v[3:4]
	v_add_f64 v[23:24], v[23:24], v[7:8]
	v_add_f64 v[62:63], v[21:22], -v[1:2]
	v_add_f64 v[72:73], v[27:28], -v[31:32]
	;; [unrolled: 1-line block ×5, first 2 shown]
	v_add_f64 v[53:54], v[13:14], v[17:18]
	v_add_f64 v[55:56], v[15:16], v[19:20]
	s_mov_b32 s0, 0xe8584caa
	s_mov_b32 s1, 0x3febb67a
	;; [unrolled: 1-line block ×4, first 2 shown]
	v_fma_f64 v[5:6], v[37:38], -0.5, v[5:6]
	v_fma_f64 v[7:8], v[39:40], -0.5, v[7:8]
	;; [unrolled: 1-line block ×6, first 2 shown]
	v_add_f64 v[13:14], v[1:2], v[49:50]
	v_add_f64 v[15:16], v[3:4], v[23:24]
	v_add_f64 v[17:18], v[53:54], v[9:10]
	v_add_f64 v[19:20], v[55:56], v[11:12]
	v_mad_u32_u24 v11, 0xc0, v61, 0
	v_fma_f64 v[21:22], v[51:52], s[0:1], v[5:6]
	v_fma_f64 v[37:38], v[51:52], s[6:7], v[5:6]
	;; [unrolled: 1-line block ×10, first 2 shown]
	s_load_dwordx2 s[0:1], s[4:5], 0x0
	v_fma_f64 v[43:44], v[68:69], s[6:7], v[70:71]
	v_fma_f64 v[45:46], v[64:65], s[6:7], v[66:67]
	s_mov_b32 s6, 0
	v_lshlrev_b32_e32 v63, 4, v59
	v_mad_u64_u32 v[9:10], null, 0xc0, v60, s[6:7]
	s_mov_b32 s6, exec_lo
	v_add_nc_u32_e32 v10, v11, v63
	v_add_nc_u32_e32 v12, v9, v63
	ds_write_b128 v10, v[13:16]
	ds_write_b128 v10, v[21:24] offset:64
	ds_write_b128 v10, v[37:40] offset:128
	ds_write_b128 v12, v[17:20]
	ds_write_b128 v12, v[41:44] offset:64
	ds_write_b128 v12, v[45:48] offset:128
	v_cmpx_gt_u32_e32 0x70, v0
	s_cbranch_execz .LBB0_20
; %bb.19:
	v_add_f64 v[12:13], v[35:36], v[27:28]
	v_add_f64 v[16:17], v[33:34], v[25:26]
	v_lshl_add_u32 v10, v59, 4, v11
	v_add_f64 v[14:15], v[31:32], v[12:13]
	v_add_f64 v[12:13], v[29:30], v[16:17]
	ds_write_b128 v10, v[1:4] offset:16192
	ds_write_b128 v10, v[12:15] offset:16128
	;; [unrolled: 1-line block ×3, first 2 shown]
.LBB0_20:
	s_or_b32 exec_lo, exec_lo, s6
	v_lshlrev_b32_e32 v10, 7, v61
	s_waitcnt lgkmcnt(0)
	s_barrier
	buffer_gl0_inv
	v_cmp_gt_u32_e32 vcc_lo, 24, v0
	v_sub_nc_u32_e32 v10, v11, v10
                                        ; implicit-def: $vgpr27_vgpr28
                                        ; implicit-def: $vgpr23_vgpr24
                                        ; implicit-def: $vgpr19_vgpr20
                                        ; implicit-def: $vgpr15_vgpr16
                                        ; implicit-def: $vgpr11_vgpr12
	v_lshl_add_u32 v62, v59, 4, v10
	ds_read_b128 v[29:32], v62
	ds_read_b128 v[49:52], v62 offset:3072
	ds_read_b128 v[45:48], v62 offset:6144
	;; [unrolled: 1-line block ×6, first 2 shown]
	s_and_saveexec_b32 s6, vcc_lo
	s_cbranch_execz .LBB0_22
; %bb.21:
	v_lshlrev_b32_e32 v1, 7, v60
	v_sub_nc_u32_e32 v1, v9, v1
	v_lshl_add_u32 v1, v59, 4, v1
	ds_read_b128 v[5:8], v62 offset:5760
	ds_read_b128 v[9:12], v62 offset:8832
	ds_read_b128 v[13:16], v62 offset:11904
	ds_read_b128 v[17:20], v62 offset:14976
	ds_read_b128 v[1:4], v1
	ds_read_b128 v[21:24], v62 offset:18048
	ds_read_b128 v[25:28], v62 offset:21120
.LBB0_22:
	s_or_b32 exec_lo, exec_lo, s6
	v_mul_lo_u16 v64, 0x56, v61
	s_mov_b32 s18, 0x37e14327
	s_mov_b32 s22, 0xe976ee23
	;; [unrolled: 1-line block ×4, first 2 shown]
	v_lshrrev_b16 v100, 8, v64
	s_mov_b32 s16, 0x429ad128
	s_mov_b32 s6, 0x36b3c0b5
	;; [unrolled: 1-line block ×4, first 2 shown]
	v_mul_lo_u16 v64, v100, 3
	s_mov_b32 s20, 0xaaaaaaaa
	s_mov_b32 s28, 0xb247c609
	;; [unrolled: 1-line block ×4, first 2 shown]
	v_sub_nc_u16 v64, v61, v64
	s_mov_b32 s29, 0x3fd5d0dc
	s_mov_b32 s25, 0x3fe77f67
	;; [unrolled: 1-line block ×4, first 2 shown]
	v_and_b32_e32 v101, 0xff, v64
	s_mov_b32 s26, s24
	s_mov_b32 s30, s28
	;; [unrolled: 1-line block ×4, first 2 shown]
	v_mul_u32_u24_e32 v64, 6, v101
	v_lshlrev_b32_e32 v84, 4, v64
	s_clause 0x5
	global_load_dwordx4 v[64:67], v84, s[0:1]
	global_load_dwordx4 v[68:71], v84, s[0:1] offset:16
	global_load_dwordx4 v[72:75], v84, s[0:1] offset:80
	;; [unrolled: 1-line block ×5, first 2 shown]
	s_waitcnt vmcnt(0) lgkmcnt(0)
	s_barrier
	buffer_gl0_inv
	v_mul_f64 v[88:89], v[51:52], v[66:67]
	v_mul_f64 v[66:67], v[49:50], v[66:67]
	;; [unrolled: 1-line block ×12, first 2 shown]
	v_fma_f64 v[49:50], v[49:50], v[64:65], -v[88:89]
	v_fma_f64 v[51:52], v[51:52], v[64:65], v[66:67]
	v_fma_f64 v[45:46], v[45:46], v[68:69], -v[90:91]
	v_fma_f64 v[47:48], v[47:48], v[68:69], v[70:71]
	;; [unrolled: 2-line block ×6, first 2 shown]
	v_add_f64 v[64:65], v[49:50], v[53:54]
	v_add_f64 v[66:67], v[51:52], v[55:56]
	;; [unrolled: 1-line block ×4, first 2 shown]
	v_add_f64 v[41:42], v[45:46], -v[41:42]
	v_add_f64 v[43:44], v[47:48], -v[43:44]
	v_add_f64 v[45:46], v[37:38], v[33:34]
	v_add_f64 v[47:48], v[39:40], v[35:36]
	v_add_f64 v[33:34], v[33:34], -v[37:38]
	v_add_f64 v[35:36], v[35:36], -v[39:40]
	;; [unrolled: 1-line block ×4, first 2 shown]
	v_add_f64 v[49:50], v[68:69], v[64:65]
	v_add_f64 v[51:52], v[70:71], v[66:67]
	v_add_f64 v[53:54], v[64:65], -v[45:46]
	v_add_f64 v[55:56], v[66:67], -v[47:48]
	;; [unrolled: 1-line block ×6, first 2 shown]
	v_add_f64 v[41:42], v[33:34], v[41:42]
	v_add_f64 v[43:44], v[35:36], v[43:44]
	v_add_f64 v[80:81], v[37:38], -v[33:34]
	v_add_f64 v[82:83], v[39:40], -v[35:36]
	v_add_f64 v[49:50], v[45:46], v[49:50]
	v_add_f64 v[51:52], v[47:48], v[51:52]
	v_add_f64 v[45:46], v[45:46], -v[68:69]
	v_add_f64 v[47:48], v[47:48], -v[70:71]
	v_mul_f64 v[53:54], v[53:54], s[18:19]
	v_mul_f64 v[55:56], v[55:56], s[18:19]
	;; [unrolled: 1-line block ×6, first 2 shown]
	v_add_f64 v[37:38], v[41:42], v[37:38]
	v_add_f64 v[39:40], v[43:44], v[39:40]
	;; [unrolled: 1-line block ×4, first 2 shown]
	v_add_f64 v[29:30], v[68:69], -v[64:65]
	v_add_f64 v[31:32], v[70:71], -v[66:67]
	v_mul_f64 v[64:65], v[45:46], s[6:7]
	v_mul_f64 v[66:67], v[47:48], s[6:7]
	v_fma_f64 v[41:42], v[45:46], s[6:7], v[53:54]
	v_fma_f64 v[43:44], v[47:48], s[6:7], v[55:56]
	;; [unrolled: 1-line block ×4, first 2 shown]
	v_fma_f64 v[68:69], v[76:77], s[16:17], -v[72:73]
	v_fma_f64 v[70:71], v[78:79], s[16:17], -v[74:75]
	;; [unrolled: 1-line block ×4, first 2 shown]
	v_fma_f64 v[49:50], v[49:50], s[20:21], v[33:34]
	v_fma_f64 v[51:52], v[51:52], s[20:21], v[35:36]
	v_fma_f64 v[53:54], v[29:30], s[26:27], -v[53:54]
	v_fma_f64 v[55:56], v[31:32], s[26:27], -v[55:56]
	;; [unrolled: 1-line block ×4, first 2 shown]
	v_fma_f64 v[66:67], v[37:38], s[34:35], v[45:46]
	v_fma_f64 v[64:65], v[39:40], s[34:35], v[47:48]
	v_fma_f64 v[68:69], v[37:38], s[34:35], v[68:69]
	v_fma_f64 v[70:71], v[39:40], s[34:35], v[70:71]
	v_fma_f64 v[72:73], v[37:38], s[34:35], v[72:73]
	v_fma_f64 v[74:75], v[39:40], s[34:35], v[74:75]
	v_add_f64 v[76:77], v[41:42], v[49:50]
	v_add_f64 v[78:79], v[43:44], v[51:52]
	;; [unrolled: 1-line block ×6, first 2 shown]
	v_mov_b32_e32 v29, 21
	v_add_f64 v[37:38], v[64:65], v[76:77]
	v_add_f64 v[39:40], v[78:79], -v[66:67]
	v_add_f64 v[41:42], v[74:75], v[53:54]
	v_add_f64 v[43:44], v[55:56], -v[72:73]
	v_add_f64 v[45:46], v[49:50], -v[70:71]
	v_add_f64 v[47:48], v[68:69], v[30:31]
	v_add_f64 v[49:50], v[70:71], v[49:50]
	v_add_f64 v[51:52], v[30:31], -v[68:69]
	v_add_f64 v[53:54], v[53:54], -v[74:75]
	v_add_f64 v[55:56], v[72:73], v[55:56]
	v_add_f64 v[64:65], v[76:77], -v[64:65]
	v_add_f64 v[66:67], v[66:67], v[78:79]
	v_mul_u32_u24_sdwa v30, v100, v29 dst_sel:DWORD dst_unused:UNUSED_PAD src0_sel:WORD_0 src1_sel:DWORD
	v_add_lshl_u32 v30, v30, v101, 6
	v_add3_u32 v30, 0, v30, v63
	ds_write_b128 v30, v[33:36]
	ds_write_b128 v30, v[37:40] offset:192
	ds_write_b128 v30, v[41:44] offset:384
	;; [unrolled: 1-line block ×6, first 2 shown]
	s_and_saveexec_b32 s36, vcc_lo
	s_cbranch_execz .LBB0_24
; %bb.23:
	v_mov_b32_e32 v30, 0xaaab
	v_mul_u32_u24_sdwa v30, v60, v30 dst_sel:DWORD dst_unused:UNUSED_PAD src0_sel:WORD_0 src1_sel:DWORD
	v_lshrrev_b32_e32 v30, 17, v30
	v_mul_lo_u16 v30, v30, 3
	v_sub_nc_u16 v30, v60, v30
	v_and_b32_e32 v56, 0xffff, v30
	v_mul_u32_u24_e32 v30, 6, v56
	v_lshlrev_b32_e32 v50, 4, v30
	s_clause 0x5
	global_load_dwordx4 v[30:33], v50, s[0:1] offset:16
	global_load_dwordx4 v[34:37], v50, s[0:1] offset:64
	global_load_dwordx4 v[38:41], v50, s[0:1]
	global_load_dwordx4 v[42:45], v50, s[0:1] offset:80
	global_load_dwordx4 v[46:49], v50, s[0:1] offset:48
	;; [unrolled: 1-line block ×3, first 2 shown]
	s_waitcnt vmcnt(5)
	v_mul_f64 v[54:55], v[9:10], v[32:33]
	s_waitcnt vmcnt(4)
	v_mul_f64 v[64:65], v[21:22], v[36:37]
	;; [unrolled: 2-line block ×4, first 2 shown]
	v_mul_f64 v[32:33], v[11:12], v[32:33]
	v_mul_f64 v[36:37], v[23:24], v[36:37]
	;; [unrolled: 1-line block ×4, first 2 shown]
	s_waitcnt vmcnt(1)
	v_mul_f64 v[70:71], v[19:20], v[48:49]
	s_waitcnt vmcnt(0)
	v_mul_f64 v[72:73], v[15:16], v[52:53]
	v_mul_f64 v[52:53], v[13:14], v[52:53]
	;; [unrolled: 1-line block ×3, first 2 shown]
	v_fma_f64 v[11:12], v[11:12], v[30:31], v[54:55]
	v_fma_f64 v[23:24], v[23:24], v[34:35], v[64:65]
	;; [unrolled: 1-line block ×4, first 2 shown]
	v_fma_f64 v[9:10], v[9:10], v[30:31], -v[32:33]
	v_fma_f64 v[21:22], v[21:22], v[34:35], -v[36:37]
	;; [unrolled: 1-line block ×6, first 2 shown]
	v_fma_f64 v[15:16], v[15:16], v[50:51], v[52:53]
	v_fma_f64 v[19:20], v[19:20], v[46:47], v[48:49]
	v_add_f64 v[30:31], v[11:12], v[23:24]
	v_add_f64 v[11:12], v[11:12], -v[23:24]
	v_add_f64 v[32:33], v[7:8], v[27:28]
	v_add_f64 v[7:8], v[7:8], -v[27:28]
	;; [unrolled: 2-line block ×4, first 2 shown]
	v_add_f64 v[38:39], v[17:18], -v[13:14]
	v_add_f64 v[13:14], v[13:14], v[17:18]
	v_add_f64 v[21:22], v[15:16], v[19:20]
	v_add_f64 v[15:16], v[19:20], -v[15:16]
	v_add_f64 v[17:18], v[30:31], v[32:33]
	v_add_f64 v[44:45], v[11:12], -v[7:8]
	;; [unrolled: 2-line block ×3, first 2 shown]
	v_add_f64 v[23:24], v[38:39], -v[9:10]
	v_add_f64 v[27:28], v[36:37], -v[13:14]
	;; [unrolled: 1-line block ×4, first 2 shown]
	v_add_f64 v[9:10], v[38:39], v[9:10]
	v_add_f64 v[38:39], v[5:6], -v[38:39]
	v_add_f64 v[11:12], v[15:16], v[11:12]
	v_add_f64 v[15:16], v[7:8], -v[15:16]
	;; [unrolled: 2-line block ×3, first 2 shown]
	v_add_f64 v[30:31], v[30:31], -v[32:33]
	v_mul_f64 v[48:49], v[44:45], s[16:17]
	v_add_f64 v[19:20], v[13:14], v[19:20]
	v_add_f64 v[13:14], v[13:14], -v[34:35]
	v_mul_f64 v[23:24], v[23:24], s[22:23]
	v_mul_f64 v[27:28], v[27:28], s[18:19]
	;; [unrolled: 1-line block ×5, first 2 shown]
	v_add_f64 v[34:35], v[34:35], -v[36:37]
	v_add_f64 v[5:6], v[9:10], v[5:6]
	v_add_f64 v[7:8], v[11:12], v[7:8]
	;; [unrolled: 1-line block ×3, first 2 shown]
	v_mul_f64 v[32:33], v[21:22], s[6:7]
	v_add_f64 v[1:2], v[1:2], v[19:20]
	v_mul_f64 v[36:37], v[13:14], s[6:7]
	v_fma_f64 v[9:10], v[38:39], s[28:29], v[23:24]
	v_fma_f64 v[13:14], v[13:14], s[6:7], v[27:28]
	;; [unrolled: 1-line block ×3, first 2 shown]
	v_fma_f64 v[21:22], v[38:39], s[30:31], -v[46:47]
	v_fma_f64 v[23:24], v[40:41], s[16:17], -v[23:24]
	;; [unrolled: 1-line block ×5, first 2 shown]
	v_fma_f64 v[17:18], v[17:18], s[20:21], v[3:4]
	v_fma_f64 v[30:31], v[30:31], s[24:25], -v[32:33]
	v_fma_f64 v[32:33], v[15:16], s[28:29], v[42:43]
	v_fma_f64 v[15:16], v[15:16], s[30:31], -v[48:49]
	;; [unrolled: 2-line block ×3, first 2 shown]
	v_fma_f64 v[9:10], v[5:6], s[34:35], v[9:10]
	v_fma_f64 v[21:22], v[5:6], s[34:35], v[21:22]
	;; [unrolled: 1-line block ×4, first 2 shown]
	v_add_f64 v[36:37], v[11:12], v[17:18]
	v_add_f64 v[23:24], v[25:26], v[17:18]
	;; [unrolled: 1-line block ×3, first 2 shown]
	v_fma_f64 v[30:31], v[7:8], s[34:35], v[32:33]
	v_add_f64 v[40:41], v[13:14], v[19:20]
	v_fma_f64 v[32:33], v[7:8], s[34:35], v[15:16]
	v_add_f64 v[42:43], v[27:28], v[19:20]
	v_add_f64 v[13:14], v[34:35], v[19:20]
	v_and_b32_e32 v7, 0xff, v60
	v_mul_lo_u16 v7, 0xab, v7
	v_lshrrev_b16 v34, 9, v7
	v_add_f64 v[27:28], v[36:37], -v[9:10]
	v_add_f64 v[11:12], v[21:22], v[23:24]
	v_add_f64 v[23:24], v[23:24], -v[21:22]
	v_add_f64 v[15:16], v[17:18], -v[5:6]
	v_add_f64 v[25:26], v[30:31], v[40:41]
	v_add_f64 v[19:20], v[5:6], v[17:18]
	v_add_f64 v[21:22], v[32:33], v[42:43]
	v_add_f64 v[17:18], v[13:14], -v[38:39]
	v_add_f64 v[13:14], v[38:39], v[13:14]
	v_add_f64 v[7:8], v[9:10], v[36:37]
	v_add_f64 v[9:10], v[42:43], -v[32:33]
	v_add_f64 v[5:6], v[40:41], -v[30:31]
	v_mul_u32_u24_sdwa v29, v34, v29 dst_sel:DWORD dst_unused:UNUSED_PAD src0_sel:WORD_0 src1_sel:DWORD
	v_add_lshl_u32 v29, v29, v56, 6
	v_add3_u32 v29, 0, v29, v63
	ds_write_b128 v29, v[1:4]
	ds_write_b128 v29, v[25:28] offset:192
	ds_write_b128 v29, v[21:24] offset:384
	;; [unrolled: 1-line block ×6, first 2 shown]
.LBB0_24:
	s_or_b32 exec_lo, exec_lo, s36
	v_mul_lo_u16 v1, v61, 49
	s_waitcnt lgkmcnt(0)
	s_barrier
	buffer_gl0_inv
	v_add_nc_u32_e32 v3, 0x54, v61
	v_lshrrev_b16 v56, 10, v1
	v_add_nc_u32_e32 v4, 0x7e, v61
	s_mov_b32 s6, 0x667f3bcd
	s_mov_b32 s7, 0xbfe6a09e
	v_lshlrev_b32_e32 v2, 6, v3
	v_mul_lo_u16 v1, v56, 21
	s_mov_b32 s17, 0x3fe6a09e
	s_mov_b32 s16, s6
	v_cmp_gt_u64_e32 vcc_lo, s[14:15], v[57:58]
	v_sub_nc_u16 v1, v61, v1
	v_and_b32_e32 v88, 0xff, v1
	v_mul_u32_u24_e32 v1, 7, v88
	v_lshlrev_b32_e32 v1, 4, v1
	s_clause 0x6
	global_load_dwordx4 v[6:9], v1, s[0:1] offset:288
	global_load_dwordx4 v[10:13], v1, s[0:1] offset:304
	;; [unrolled: 1-line block ×7, first 2 shown]
	v_lshlrev_b32_e32 v1, 6, v60
	v_add3_u32 v5, 0, v1, v63
	v_add3_u32 v1, 0, v2, v63
	v_lshlrev_b32_e32 v2, 6, v4
	ds_read_b128 v[34:37], v5
	ds_read_b128 v[38:41], v1
	ds_read_b128 v[42:45], v62 offset:10752
	v_add3_u32 v2, 0, v2, v63
	ds_read_b128 v[46:49], v62 offset:16128
	ds_read_b128 v[50:53], v62 offset:13440
	ds_read_b128 v[64:67], v2
	ds_read_b128 v[68:71], v62 offset:18816
	ds_read_b128 v[72:75], v62
	s_waitcnt vmcnt(0) lgkmcnt(0)
	s_barrier
	buffer_gl0_inv
	v_mul_f64 v[54:55], v[36:37], v[8:9]
	v_mul_f64 v[8:9], v[34:35], v[8:9]
	;; [unrolled: 1-line block ×14, first 2 shown]
	v_fma_f64 v[34:35], v[34:35], v[6:7], -v[54:55]
	v_fma_f64 v[6:7], v[36:37], v[6:7], v[8:9]
	v_fma_f64 v[8:9], v[38:39], v[10:11], -v[76:77]
	v_fma_f64 v[10:11], v[40:41], v[10:11], v[12:13]
	;; [unrolled: 2-line block ×7, first 2 shown]
	v_add_f64 v[12:13], v[72:73], -v[12:13]
	v_add_f64 v[14:15], v[74:75], -v[14:15]
	v_add_f64 v[16:17], v[8:9], -v[16:17]
	v_add_f64 v[18:19], v[10:11], -v[18:19]
	v_add_f64 v[20:21], v[34:35], -v[20:21]
	v_add_f64 v[22:23], v[6:7], -v[22:23]
	v_add_f64 v[28:29], v[24:25], -v[28:29]
	v_add_f64 v[30:31], v[26:27], -v[30:31]
	v_fma_f64 v[32:33], v[72:73], 2.0, -v[12:13]
	v_fma_f64 v[36:37], v[74:75], 2.0, -v[14:15]
	;; [unrolled: 1-line block ×6, first 2 shown]
	v_add_f64 v[38:39], v[12:13], -v[18:19]
	v_add_f64 v[40:41], v[14:15], v[16:17]
	v_fma_f64 v[16:17], v[24:25], 2.0, -v[28:29]
	v_fma_f64 v[18:19], v[26:27], 2.0, -v[30:31]
	v_add_f64 v[24:25], v[20:21], -v[30:31]
	v_add_f64 v[26:27], v[22:23], v[28:29]
	v_add_f64 v[28:29], v[32:33], -v[8:9]
	v_add_f64 v[30:31], v[36:37], -v[10:11]
	v_fma_f64 v[42:43], v[12:13], 2.0, -v[38:39]
	v_fma_f64 v[44:45], v[14:15], 2.0, -v[40:41]
	v_add_f64 v[8:9], v[34:35], -v[16:17]
	v_add_f64 v[10:11], v[6:7], -v[18:19]
	v_fma_f64 v[20:21], v[20:21], 2.0, -v[24:25]
	v_fma_f64 v[18:19], v[22:23], 2.0, -v[26:27]
	v_fma_f64 v[12:13], v[24:25], s[16:17], v[38:39]
	v_fma_f64 v[14:15], v[26:27], s[16:17], v[40:41]
	v_fma_f64 v[32:33], v[32:33], 2.0, -v[28:29]
	v_fma_f64 v[36:37], v[36:37], 2.0, -v[30:31]
	;; [unrolled: 1-line block ×4, first 2 shown]
	v_fma_f64 v[34:35], v[20:21], s[6:7], v[42:43]
	v_fma_f64 v[46:47], v[18:19], s[6:7], v[44:45]
	v_add_f64 v[6:7], v[28:29], -v[10:11]
	v_add_f64 v[8:9], v[30:31], v[8:9]
	v_fma_f64 v[10:11], v[26:27], s[6:7], v[12:13]
	v_fma_f64 v[12:13], v[24:25], s[16:17], v[14:15]
	v_add_f64 v[14:15], v[32:33], -v[16:17]
	v_add_f64 v[16:17], v[36:37], -v[22:23]
	v_fma_f64 v[18:19], v[18:19], s[6:7], v[34:35]
	v_fma_f64 v[20:21], v[20:21], s[16:17], v[46:47]
	v_mov_b32_e32 v22, 0xa8
	v_fma_f64 v[24:25], v[30:31], 2.0, -v[8:9]
	v_fma_f64 v[26:27], v[38:39], 2.0, -v[10:11]
	s_or_b32 s6, s33, vcc_lo
	v_mul_u32_u24_sdwa v46, v56, v22 dst_sel:DWORD dst_unused:UNUSED_PAD src0_sel:WORD_0 src1_sel:DWORD
	v_fma_f64 v[22:23], v[28:29], 2.0, -v[6:7]
	v_fma_f64 v[28:29], v[40:41], 2.0, -v[12:13]
	v_add_lshl_u32 v38, v46, v88, 6
	v_add3_u32 v38, 0, v38, v63
	v_fma_f64 v[30:31], v[32:33], 2.0, -v[14:15]
	v_fma_f64 v[32:33], v[36:37], 2.0, -v[16:17]
	;; [unrolled: 1-line block ×4, first 2 shown]
	ds_write_b128 v38, v[6:9] offset:8064
	ds_write_b128 v38, v[10:13] offset:9408
	;; [unrolled: 1-line block ×6, first 2 shown]
	ds_write_b128 v38, v[30:33]
	ds_write_b128 v38, v[34:37] offset:1344
	s_waitcnt lgkmcnt(0)
	s_barrier
	buffer_gl0_inv
	s_and_saveexec_b32 s7, s6
	s_cbranch_execz .LBB0_26
; %bb.25:
	v_add_nc_u32_e32 v6, 0xffffff82, v61
	v_cmp_gt_u32_e32 vcc_lo, 0x1f8, v0
	v_mov_b32_e32 v92, 0
	v_add_nc_u32_e32 v7, 0xffffff58, v61
	s_load_dwordx2 s[4:5], s[4:5], 0x8
	v_mov_b32_e32 v54, 4
	v_cndmask_b32_e32 v91, v6, v60, vcc_lo
	v_cmp_gt_u32_e32 vcc_lo, 0x2a0, v0
	v_mov_b32_e32 v94, v92
	v_mul_u32_u24_e32 v30, 0x187, v4
	v_mul_u32_u24_e32 v40, 0x187, v3
	v_mul_lo_u32 v14, v57, v91
	v_cndmask_b32_e32 v93, v7, v61, vcc_lo
	v_lshlrev_b64 v[6:7], 4, v[91:92]
	v_add_nc_u32_e32 v24, 0xa8, v91
	v_lshrrev_b32_e32 v30, 16, v30
	v_lshlrev_b64 v[8:9], 4, v[93:94]
	v_mul_lo_u32 v22, v57, v93
	v_add_co_u32 v6, vcc_lo, s0, v6
	v_add_co_ci_u32_e32 v7, vcc_lo, s1, v7, vcc_lo
	v_add_co_u32 v8, vcc_lo, s0, v8
	v_add_co_ci_u32_e32 v9, vcc_lo, s1, v9, vcc_lo
	;; [unrolled: 2-line block ×4, first 2 shown]
	s_clause 0x1
	global_load_dwordx4 v[6:9], v[6:7], off offset:592
	global_load_dwordx4 v[10:13], v[10:11], off offset:592
	v_bfe_u32 v15, v14, 8, 8
	v_lshlrev_b32_sdwa v14, v54, v14 dst_sel:DWORD dst_unused:UNUSED_PAD src0_sel:DWORD src1_sel:BYTE_0
	v_bfe_u32 v23, v22, 8, 8
	v_lshlrev_b32_sdwa v22, v54, v22 dst_sel:DWORD dst_unused:UNUSED_PAD src0_sel:DWORD src1_sel:BYTE_0
	v_mul_lo_u32 v31, v57, v24
	v_lshl_or_b32 v18, v15, 4, 0x1000
	s_waitcnt lgkmcnt(0)
	s_clause 0x1
	global_load_dwordx4 v[14:17], v14, s[4:5]
	global_load_dwordx4 v[18:21], v18, s[4:5]
	v_lshl_or_b32 v26, v23, 4, 0x1000
	s_clause 0x1
	global_load_dwordx4 v[22:25], v22, s[4:5]
	global_load_dwordx4 v[26:29], v26, s[4:5]
	v_mul_lo_u16 v38, 0xa8, v30
	v_bfe_u32 v32, v31, 8, 8
	v_add_nc_u32_e32 v33, 0xa8, v93
	v_lshlrev_b32_sdwa v30, v54, v31 dst_sel:DWORD dst_unused:UNUSED_PAD src0_sel:DWORD src1_sel:BYTE_0
	v_sub_nc_u16 v38, v4, v38
	v_lshl_or_b32 v34, v32, 4, 0x1000
	v_mul_lo_u32 v39, v57, v33
	s_clause 0x1
	global_load_dwordx4 v[30:33], v30, s[4:5]
	global_load_dwordx4 v[34:37], v34, s[4:5]
	v_and_b32_e32 v61, 0xffff, v38
	v_lshrrev_b32_e32 v38, 16, v40
	v_bfe_u32 v41, v39, 8, 8
	v_lshlrev_b32_e32 v46, 4, v61
	v_lshlrev_b32_sdwa v39, v54, v39 dst_sel:DWORD dst_unused:UNUSED_PAD src0_sel:DWORD src1_sel:BYTE_0
	v_mul_lo_u16 v47, 0xa8, v38
	v_mul_lo_u32 v55, v57, v61
	v_lshl_or_b32 v42, v41, 4, 0x1000
	v_add_co_u32 v46, s6, s0, v46
	v_add_co_ci_u32_e64 v48, null, s1, 0, s6
	s_clause 0x1
	global_load_dwordx4 v[38:41], v39, s[4:5]
	global_load_dwordx4 v[42:45], v42, s[4:5]
	v_add_co_u32 v46, vcc_lo, 0x800, v46
	v_sub_nc_u16 v49, v3, v47
	v_add_co_ci_u32_e32 v47, vcc_lo, 0, v48, vcc_lo
	v_bfe_u32 v56, v55, 8, 8
	v_lshlrev_b32_sdwa v55, v54, v55 dst_sel:DWORD dst_unused:UNUSED_PAD src0_sel:DWORD src1_sel:BYTE_0
	v_and_b32_e32 v92, 0xffff, v49
	global_load_dwordx4 v[46:49], v[46:47], off offset:592
	v_add_nc_u32_e32 v58, 0xa8, v61
	v_lshl_or_b32 v56, v56, 4, 0x1000
	v_lshlrev_b32_e32 v50, 4, v92
	v_add_nc_u32_e32 v88, 0xa8, v92
	v_mul_lo_u32 v87, v57, v92
	v_mul_lo_u32 v58, v57, v58
	v_add_co_u32 v50, s0, s0, v50
	v_add_co_ci_u32_e64 v51, null, s1, 0, s0
	s_lshl_b64 s[0:1], s[2:3], 4
	v_add_co_u32 v50, vcc_lo, 0x800, v50
	v_add_co_ci_u32_e32 v51, vcc_lo, 0, v51, vcc_lo
	v_lshlrev_b32_sdwa v102, v54, v87 dst_sel:DWORD dst_unused:UNUSED_PAD src0_sel:DWORD src1_sel:BYTE_0
	v_cmp_lt_u32_e32 vcc_lo, 0x29f, v0
	s_add_u32 s0, s12, s0
	global_load_dwordx4 v[50:53], v[50:51], off offset:592
	ds_read_b128 v[63:66], v62 offset:13440
	ds_read_b128 v[67:70], v62 offset:10752
	;; [unrolled: 1-line block ×3, first 2 shown]
	ds_read_b128 v[75:78], v62
	s_clause 0x1
	global_load_dwordx4 v[79:82], v55, s[4:5]
	global_load_dwordx4 v[83:86], v56, s[4:5]
	v_mul_lo_u32 v55, v57, v88
	v_bfe_u32 v56, v58, 8, 8
	v_bfe_u32 v57, v87, 8, 8
	v_lshlrev_b32_sdwa v58, v54, v58 dst_sel:DWORD dst_unused:UNUSED_PAD src0_sel:DWORD src1_sel:BYTE_0
	s_addc_u32 s1, s13, s1
	v_lshl_or_b32 v88, v56, 4, 0x1000
	v_lshl_or_b32 v103, v57, 4, 0x1000
	v_bfe_u32 v87, v55, 8, 8
	v_lshlrev_b32_sdwa v100, v54, v55 dst_sel:DWORD dst_unused:UNUSED_PAD src0_sel:DWORD src1_sel:BYTE_0
	v_lshl_or_b32 v101, v87, 4, 0x1000
	s_clause 0x1
	global_load_dwordx4 v[54:57], v58, s[4:5]
	global_load_dwordx4 v[87:90], v88, s[4:5]
	s_waitcnt vmcnt(15) lgkmcnt(3)
	v_mul_f64 v[94:95], v[63:64], v[8:9]
	v_mul_f64 v[8:9], v[65:66], v[8:9]
	s_waitcnt vmcnt(14) lgkmcnt(2)
	v_mul_f64 v[96:97], v[67:68], v[12:13]
	v_mul_f64 v[12:13], v[69:70], v[12:13]
	v_fma_f64 v[94:95], v[65:66], v[6:7], v[94:95]
	v_fma_f64 v[98:99], v[63:64], v[6:7], -v[8:9]
	s_clause 0x1
	global_load_dwordx4 v[6:9], v100, s[4:5]
	global_load_dwordx4 v[63:66], v101, s[4:5]
	v_fma_f64 v[96:97], v[69:70], v[10:11], v[96:97]
	v_fma_f64 v[100:101], v[67:68], v[10:11], -v[12:13]
	s_clause 0x1
	global_load_dwordx4 v[10:13], v102, s[4:5]
	global_load_dwordx4 v[67:70], v103, s[4:5]
	s_waitcnt vmcnt(16)
	v_mul_f64 v[102:103], v[16:17], v[20:21]
	v_mul_f64 v[20:21], v[14:15], v[20:21]
	s_waitcnt lgkmcnt(0)
	v_add_f64 v[96:97], v[77:78], -v[96:97]
	v_fma_f64 v[102:103], v[14:15], v[18:19], -v[102:103]
	v_fma_f64 v[104:105], v[16:17], v[18:19], v[20:21]
	s_waitcnt vmcnt(14)
	v_mul_f64 v[14:15], v[24:25], v[28:29]
	v_mul_f64 v[16:17], v[22:23], v[28:29]
	s_waitcnt vmcnt(12)
	v_mul_f64 v[18:19], v[32:33], v[36:37]
	v_mul_f64 v[20:21], v[30:31], v[36:37]
	s_waitcnt vmcnt(10)
	v_mul_f64 v[36:37], v[38:39], v[44:45]
	v_fma_f64 v[77:78], v[77:78], 2.0, -v[96:97]
	v_fma_f64 v[28:29], v[22:23], v[26:27], -v[14:15]
	v_fma_f64 v[22:23], v[24:25], v[26:27], v[16:17]
	ds_read_b128 v[14:17], v62 offset:18816
	v_mul_f64 v[26:27], v[40:41], v[44:45]
	v_cndmask_b32_e64 v44, 0, 0x150, vcc_lo
	v_mad_u64_u32 v[24:25], null, s10, v59, 0
	v_fma_f64 v[30:31], v[30:31], v[34:35], -v[18:19]
	v_fma_f64 v[32:33], v[32:33], v[34:35], v[20:21]
	ds_read_b128 v[18:21], v5
	v_add_nc_u32_e32 v5, v93, v44
	v_fma_f64 v[36:37], v[40:41], v[42:43], v[36:37]
	v_mov_b32_e32 v0, v25
	v_sub_nc_u32_e32 v25, v60, v91
	v_add_nc_u32_e32 v62, 0xa8, v5
	v_add_nc_u32_e32 v60, v25, v60
	s_waitcnt vmcnt(9) lgkmcnt(1)
	v_mul_f64 v[44:45], v[16:17], v[48:49]
	v_mul_f64 v[34:35], v[14:15], v[48:49]
	v_mad_u64_u32 v[48:49], null, s11, v59, v[0:1]
	v_mad_u64_u32 v[58:59], null, s8, v5, 0
	v_fma_f64 v[26:27], v[38:39], v[42:43], -v[26:27]
	s_waitcnt vmcnt(8)
	v_mul_f64 v[42:43], v[71:72], v[52:53]
	v_mad_u64_u32 v[38:39], null, s8, v62, 0
	v_mov_b32_e32 v25, v48
	v_mul_f64 v[48:49], v[73:74], v[52:53]
	v_mov_b32_e32 v0, v59
	v_mad_u64_u32 v[40:41], null, s8, v60, 0
	v_add_nc_u32_e32 v91, 0xa8, v60
	v_fma_f64 v[44:45], v[14:15], v[46:47], -v[44:45]
	v_lshlrev_b64 v[14:15], 4, v[24:25]
	v_fma_f64 v[34:35], v[16:17], v[46:47], v[34:35]
	v_sub_nc_u32_e32 v16, v3, v92
	v_sub_nc_u32_e32 v17, v4, v61
	v_mad_u64_u32 v[24:25], null, s9, v5, v[0:1]
	v_add_co_u32 v110, vcc_lo, s0, v14
	v_add_nc_u32_e32 v92, v16, v3
	v_add_nc_u32_e32 v93, v17, v4
	v_add_co_ci_u32_e32 v111, vcc_lo, s1, v15, vcc_lo
	ds_read_b128 v[2:5], v2
	ds_read_b128 v[14:17], v1
	v_mad_u64_u32 v[46:47], null, s8, v91, 0
	v_mov_b32_e32 v0, v39
	v_mov_b32_e32 v25, v41
	v_fma_f64 v[42:43], v[73:74], v[50:51], v[42:43]
	v_fma_f64 v[48:49], v[71:72], v[50:51], -v[48:49]
	v_mad_u64_u32 v[50:51], null, s8, v92, 0
	v_mad_u64_u32 v[52:53], null, s9, v62, v[0:1]
	;; [unrolled: 1-line block ×3, first 2 shown]
	v_mov_b32_e32 v1, v47
	v_mov_b32_e32 v59, v24
	v_add_nc_u32_e32 v62, 0xa8, v92
	v_mad_u64_u32 v[60:61], null, s8, v93, 0
	v_mov_b32_e32 v39, v52
	s_waitcnt lgkmcnt(1)
	v_mad_u64_u32 v[24:25], null, s9, v91, v[1:2]
	v_mov_b32_e32 v41, v0
	v_lshlrev_b64 v[0:1], 4, v[58:59]
	v_mad_u64_u32 v[71:72], null, s8, v62, 0
	v_mov_b32_e32 v25, v51
	v_mov_b32_e32 v51, v61
	v_add_nc_u32_e32 v106, 0xa8, v93
	v_add_co_u32 v52, vcc_lo, v110, v0
	v_add_co_ci_u32_e32 v53, vcc_lo, v111, v1, vcc_lo
	v_mad_u64_u32 v[0:1], null, s9, v92, v[25:26]
	v_mov_b32_e32 v1, v72
	v_mov_b32_e32 v47, v24
	v_mad_u64_u32 v[24:25], null, s9, v93, v[51:52]
	v_mad_u64_u32 v[73:74], null, s8, v106, 0
	;; [unrolled: 1-line block ×3, first 2 shown]
	v_mov_b32_e32 v51, v0
	s_waitcnt vmcnt(6)
	v_mul_f64 v[0:1], v[81:82], v[85:86]
	v_mul_f64 v[85:86], v[79:80], v[85:86]
	v_add_f64 v[44:45], v[2:3], -v[44:45]
	v_mov_b32_e32 v25, v74
	v_add_f64 v[34:35], v[4:5], -v[34:35]
	v_mov_b32_e32 v72, v58
	v_mov_b32_e32 v61, v24
	s_waitcnt lgkmcnt(0)
	v_add_f64 v[42:43], v[16:17], -v[42:43]
	v_mad_u64_u32 v[91:92], null, s9, v106, v[25:26]
	v_add_f64 v[92:93], v[20:21], -v[94:95]
	v_add_f64 v[94:95], v[18:19], -v[98:99]
	;; [unrolled: 1-line block ×3, first 2 shown]
	s_waitcnt vmcnt(4)
	v_mul_f64 v[24:25], v[54:55], v[89:90]
	v_add_f64 v[48:49], v[14:15], -v[48:49]
	v_lshlrev_b64 v[38:39], 4, v[38:39]
	v_lshlrev_b64 v[40:41], 4, v[40:41]
	v_lshlrev_b64 v[50:51], 4, v[50:51]
	v_lshlrev_b64 v[60:61], 4, v[60:61]
	v_mov_b32_e32 v74, v91
	v_add_co_u32 v38, vcc_lo, v110, v38
	v_fma_f64 v[79:80], v[79:80], v[83:84], -v[0:1]
	v_fma_f64 v[0:1], v[81:82], v[83:84], v[85:86]
	v_mul_f64 v[83:84], v[56:57], v[89:90]
	v_fma_f64 v[100:101], v[2:3], 2.0, -v[44:45]
	v_fma_f64 v[89:90], v[4:5], 2.0, -v[34:35]
	v_add_co_ci_u32_e32 v39, vcc_lo, v111, v39, vcc_lo
	v_fma_f64 v[106:107], v[16:17], 2.0, -v[42:43]
	v_add_co_u32 v40, vcc_lo, v110, v40
	v_fma_f64 v[85:86], v[18:19], 2.0, -v[94:95]
	v_fma_f64 v[75:76], v[75:76], 2.0, -v[98:99]
	;; [unrolled: 1-line block ×3, first 2 shown]
	v_fma_f64 v[4:5], v[56:57], v[87:88], v[24:25]
	v_fma_f64 v[108:109], v[14:15], 2.0, -v[48:49]
	v_lshlrev_b64 v[14:15], 4, v[46:47]
	v_add_co_ci_u32_e32 v41, vcc_lo, v111, v41, vcc_lo
	v_fma_f64 v[16:17], v[54:55], v[87:88], -v[83:84]
	v_mul_f64 v[87:88], v[89:90], v[0:1]
	v_mul_f64 v[46:47], v[34:35], v[4:5]
	s_waitcnt vmcnt(2)
	v_mul_f64 v[58:59], v[6:7], v[65:66]
	v_mul_f64 v[2:3], v[8:9], v[65:66]
	s_waitcnt vmcnt(0)
	v_mul_f64 v[81:82], v[12:13], v[69:70]
	v_mul_f64 v[69:70], v[10:11], v[69:70]
	v_fma_f64 v[8:9], v[8:9], v[63:64], v[58:59]
	v_fma_f64 v[18:19], v[6:7], v[63:64], -v[2:3]
	v_mul_f64 v[58:59], v[85:86], v[104:105]
	v_mul_f64 v[62:63], v[75:76], v[22:23]
	v_fma_f64 v[12:13], v[12:13], v[67:68], v[69:70]
	v_mul_f64 v[64:65], v[77:78], v[22:23]
	v_fma_f64 v[24:25], v[10:11], v[67:68], -v[81:82]
	v_mul_f64 v[2:3], v[94:95], v[32:33]
	v_mul_f64 v[6:7], v[92:93], v[32:33]
	;; [unrolled: 1-line block ×7, first 2 shown]
	v_add_co_u32 v104, vcc_lo, v110, v14
	v_add_co_ci_u32_e32 v105, vcc_lo, v111, v15, vcc_lo
	v_lshlrev_b64 v[70:71], 4, v[71:72]
	v_lshlrev_b64 v[72:73], 4, v[73:74]
	v_mul_f64 v[54:55], v[48:49], v[8:9]
	v_mul_f64 v[56:57], v[42:43], v[8:9]
	v_fma_f64 v[8:9], v[44:45], v[16:17], -v[46:47]
	v_fma_f64 v[22:23], v[77:78], v[28:29], v[62:63]
	v_mul_f64 v[81:82], v[108:109], v[12:13]
	v_mul_f64 v[83:84], v[106:107], v[12:13]
	v_fma_f64 v[2:3], v[92:93], v[30:31], v[2:3]
	v_fma_f64 v[0:1], v[94:95], v[30:31], -v[6:7]
	v_fma_f64 v[6:7], v[96:97], v[26:27], v[10:11]
	v_fma_f64 v[4:5], v[98:99], v[26:27], -v[32:33]
	;; [unrolled: 2-line block ×3, first 2 shown]
	v_fma_f64 v[26:27], v[89:90], v[79:80], v[68:69]
	v_add_co_u32 v32, vcc_lo, v110, v50
	v_add_co_ci_u32_e32 v33, vcc_lo, v111, v51, vcc_lo
	v_add_co_u32 v34, vcc_lo, v110, v60
	v_add_co_ci_u32_e32 v35, vcc_lo, v111, v61, vcc_lo
	v_fma_f64 v[14:15], v[42:43], v[18:19], v[54:55]
	v_fma_f64 v[12:13], v[48:49], v[18:19], -v[56:57]
	v_fma_f64 v[18:19], v[20:21], v[102:103], v[58:59]
	v_fma_f64 v[20:21], v[75:76], v[28:29], -v[64:65]
	v_fma_f64 v[30:31], v[106:107], v[24:25], v[81:82]
	v_fma_f64 v[28:29], v[108:109], v[24:25], -v[83:84]
	v_fma_f64 v[24:25], v[100:101], v[79:80], -v[87:88]
	v_add_co_u32 v36, vcc_lo, v110, v70
	v_add_co_ci_u32_e32 v37, vcc_lo, v111, v71, vcc_lo
	v_add_co_u32 v42, vcc_lo, v110, v72
	v_add_co_ci_u32_e32 v43, vcc_lo, v111, v73, vcc_lo
	global_store_dwordx4 v[52:53], v[20:23], off
	global_store_dwordx4 v[38:39], v[4:7], off
	;; [unrolled: 1-line block ×8, first 2 shown]
.LBB0_26:
	s_endpgm
	.section	.rodata,"a",@progbits
	.p2align	6, 0x0
	.amdhsa_kernel fft_rtc_fwd_len336_factors_3_7_8_2_wgs_168_tpt_42_dim3_dp_ip_CI_sbcc_twdbase8_2step_dirReg
		.amdhsa_group_segment_fixed_size 0
		.amdhsa_private_segment_fixed_size 0
		.amdhsa_kernarg_size 88
		.amdhsa_user_sgpr_count 6
		.amdhsa_user_sgpr_private_segment_buffer 1
		.amdhsa_user_sgpr_dispatch_ptr 0
		.amdhsa_user_sgpr_queue_ptr 0
		.amdhsa_user_sgpr_kernarg_segment_ptr 1
		.amdhsa_user_sgpr_dispatch_id 0
		.amdhsa_user_sgpr_flat_scratch_init 0
		.amdhsa_user_sgpr_private_segment_size 0
		.amdhsa_wavefront_size32 1
		.amdhsa_uses_dynamic_stack 0
		.amdhsa_system_sgpr_private_segment_wavefront_offset 0
		.amdhsa_system_sgpr_workgroup_id_x 1
		.amdhsa_system_sgpr_workgroup_id_y 0
		.amdhsa_system_sgpr_workgroup_id_z 0
		.amdhsa_system_sgpr_workgroup_info 0
		.amdhsa_system_vgpr_workitem_id 0
		.amdhsa_next_free_vgpr 112
		.amdhsa_next_free_sgpr 37
		.amdhsa_reserve_vcc 1
		.amdhsa_reserve_flat_scratch 0
		.amdhsa_float_round_mode_32 0
		.amdhsa_float_round_mode_16_64 0
		.amdhsa_float_denorm_mode_32 3
		.amdhsa_float_denorm_mode_16_64 3
		.amdhsa_dx10_clamp 1
		.amdhsa_ieee_mode 1
		.amdhsa_fp16_overflow 0
		.amdhsa_workgroup_processor_mode 1
		.amdhsa_memory_ordered 1
		.amdhsa_forward_progress 0
		.amdhsa_shared_vgpr_count 0
		.amdhsa_exception_fp_ieee_invalid_op 0
		.amdhsa_exception_fp_denorm_src 0
		.amdhsa_exception_fp_ieee_div_zero 0
		.amdhsa_exception_fp_ieee_overflow 0
		.amdhsa_exception_fp_ieee_underflow 0
		.amdhsa_exception_fp_ieee_inexact 0
		.amdhsa_exception_int_div_zero 0
	.end_amdhsa_kernel
	.text
.Lfunc_end0:
	.size	fft_rtc_fwd_len336_factors_3_7_8_2_wgs_168_tpt_42_dim3_dp_ip_CI_sbcc_twdbase8_2step_dirReg, .Lfunc_end0-fft_rtc_fwd_len336_factors_3_7_8_2_wgs_168_tpt_42_dim3_dp_ip_CI_sbcc_twdbase8_2step_dirReg
                                        ; -- End function
	.section	.AMDGPU.csdata,"",@progbits
; Kernel info:
; codeLenInByte = 8112
; NumSgprs: 39
; NumVgprs: 112
; ScratchSize: 0
; MemoryBound: 1
; FloatMode: 240
; IeeeMode: 1
; LDSByteSize: 0 bytes/workgroup (compile time only)
; SGPRBlocks: 4
; VGPRBlocks: 13
; NumSGPRsForWavesPerEU: 39
; NumVGPRsForWavesPerEU: 112
; Occupancy: 9
; WaveLimiterHint : 1
; COMPUTE_PGM_RSRC2:SCRATCH_EN: 0
; COMPUTE_PGM_RSRC2:USER_SGPR: 6
; COMPUTE_PGM_RSRC2:TRAP_HANDLER: 0
; COMPUTE_PGM_RSRC2:TGID_X_EN: 1
; COMPUTE_PGM_RSRC2:TGID_Y_EN: 0
; COMPUTE_PGM_RSRC2:TGID_Z_EN: 0
; COMPUTE_PGM_RSRC2:TIDIG_COMP_CNT: 0
	.text
	.p2alignl 6, 3214868480
	.fill 48, 4, 3214868480
	.type	__hip_cuid_e8cd594ba9e0e5a9,@object ; @__hip_cuid_e8cd594ba9e0e5a9
	.section	.bss,"aw",@nobits
	.globl	__hip_cuid_e8cd594ba9e0e5a9
__hip_cuid_e8cd594ba9e0e5a9:
	.byte	0                               ; 0x0
	.size	__hip_cuid_e8cd594ba9e0e5a9, 1

	.ident	"AMD clang version 19.0.0git (https://github.com/RadeonOpenCompute/llvm-project roc-6.4.0 25133 c7fe45cf4b819c5991fe208aaa96edf142730f1d)"
	.section	".note.GNU-stack","",@progbits
	.addrsig
	.addrsig_sym __hip_cuid_e8cd594ba9e0e5a9
	.amdgpu_metadata
---
amdhsa.kernels:
  - .args:
      - .actual_access:  read_only
        .address_space:  global
        .offset:         0
        .size:           8
        .value_kind:     global_buffer
      - .address_space:  global
        .offset:         8
        .size:           8
        .value_kind:     global_buffer
      - .actual_access:  read_only
        .address_space:  global
        .offset:         16
        .size:           8
        .value_kind:     global_buffer
      - .actual_access:  read_only
        .address_space:  global
        .offset:         24
        .size:           8
        .value_kind:     global_buffer
      - .offset:         32
        .size:           8
        .value_kind:     by_value
      - .actual_access:  read_only
        .address_space:  global
        .offset:         40
        .size:           8
        .value_kind:     global_buffer
      - .actual_access:  read_only
        .address_space:  global
        .offset:         48
        .size:           8
        .value_kind:     global_buffer
      - .offset:         56
        .size:           4
        .value_kind:     by_value
      - .actual_access:  read_only
        .address_space:  global
        .offset:         64
        .size:           8
        .value_kind:     global_buffer
      - .actual_access:  read_only
        .address_space:  global
        .offset:         72
        .size:           8
        .value_kind:     global_buffer
      - .address_space:  global
        .offset:         80
        .size:           8
        .value_kind:     global_buffer
    .group_segment_fixed_size: 0
    .kernarg_segment_align: 8
    .kernarg_segment_size: 88
    .language:       OpenCL C
    .language_version:
      - 2
      - 0
    .max_flat_workgroup_size: 168
    .name:           fft_rtc_fwd_len336_factors_3_7_8_2_wgs_168_tpt_42_dim3_dp_ip_CI_sbcc_twdbase8_2step_dirReg
    .private_segment_fixed_size: 0
    .sgpr_count:     39
    .sgpr_spill_count: 0
    .symbol:         fft_rtc_fwd_len336_factors_3_7_8_2_wgs_168_tpt_42_dim3_dp_ip_CI_sbcc_twdbase8_2step_dirReg.kd
    .uniform_work_group_size: 1
    .uses_dynamic_stack: false
    .vgpr_count:     112
    .vgpr_spill_count: 0
    .wavefront_size: 32
    .workgroup_processor_mode: 1
amdhsa.target:   amdgcn-amd-amdhsa--gfx1030
amdhsa.version:
  - 1
  - 2
...

	.end_amdgpu_metadata
